;; amdgpu-corpus repo=ROCm/rocFFT kind=compiled arch=gfx1201 opt=O3
	.text
	.amdgcn_target "amdgcn-amd-amdhsa--gfx1201"
	.amdhsa_code_object_version 6
	.protected	fft_rtc_back_len1210_factors_2_5_11_11_wgs_110_tpt_110_halfLds_half_ip_CI_unitstride_sbrr_dirReg ; -- Begin function fft_rtc_back_len1210_factors_2_5_11_11_wgs_110_tpt_110_halfLds_half_ip_CI_unitstride_sbrr_dirReg
	.globl	fft_rtc_back_len1210_factors_2_5_11_11_wgs_110_tpt_110_halfLds_half_ip_CI_unitstride_sbrr_dirReg
	.p2align	8
	.type	fft_rtc_back_len1210_factors_2_5_11_11_wgs_110_tpt_110_halfLds_half_ip_CI_unitstride_sbrr_dirReg,@function
fft_rtc_back_len1210_factors_2_5_11_11_wgs_110_tpt_110_halfLds_half_ip_CI_unitstride_sbrr_dirReg: ; @fft_rtc_back_len1210_factors_2_5_11_11_wgs_110_tpt_110_halfLds_half_ip_CI_unitstride_sbrr_dirReg
; %bb.0:
	s_clause 0x2
	s_load_b128 s[4:7], s[0:1], 0x0
	s_load_b64 s[8:9], s[0:1], 0x50
	s_load_b64 s[10:11], s[0:1], 0x18
	v_mul_u32_u24_e32 v1, 0x254, v0
	v_mov_b32_e32 v3, 0
	s_delay_alu instid0(VALU_DEP_2) | instskip(NEXT) | instid1(VALU_DEP_1)
	v_lshrrev_b32_e32 v1, 16, v1
	v_add_nc_u32_e32 v5, ttmp9, v1
	v_mov_b32_e32 v1, 0
	v_mov_b32_e32 v2, 0
	;; [unrolled: 1-line block ×3, first 2 shown]
	s_wait_kmcnt 0x0
	v_cmp_lt_u64_e64 s2, s[6:7], 2
	s_delay_alu instid0(VALU_DEP_1)
	s_and_b32 vcc_lo, exec_lo, s2
	s_cbranch_vccnz .LBB0_8
; %bb.1:
	s_load_b64 s[2:3], s[0:1], 0x10
	v_mov_b32_e32 v1, 0
	v_mov_b32_e32 v2, 0
	s_add_nc_u64 s[12:13], s[10:11], 8
	s_mov_b64 s[14:15], 1
	s_wait_kmcnt 0x0
	s_add_nc_u64 s[16:17], s[2:3], 8
	s_mov_b32 s3, 0
.LBB0_2:                                ; =>This Inner Loop Header: Depth=1
	s_load_b64 s[18:19], s[16:17], 0x0
                                        ; implicit-def: $vgpr7_vgpr8
	s_mov_b32 s2, exec_lo
	s_wait_kmcnt 0x0
	v_or_b32_e32 v4, s19, v6
	s_delay_alu instid0(VALU_DEP_1)
	v_cmpx_ne_u64_e32 0, v[3:4]
	s_wait_alu 0xfffe
	s_xor_b32 s20, exec_lo, s2
	s_cbranch_execz .LBB0_4
; %bb.3:                                ;   in Loop: Header=BB0_2 Depth=1
	s_cvt_f32_u32 s2, s18
	s_cvt_f32_u32 s21, s19
	s_sub_nc_u64 s[24:25], 0, s[18:19]
	s_wait_alu 0xfffe
	s_delay_alu instid0(SALU_CYCLE_1) | instskip(SKIP_1) | instid1(SALU_CYCLE_2)
	s_fmamk_f32 s2, s21, 0x4f800000, s2
	s_wait_alu 0xfffe
	v_s_rcp_f32 s2, s2
	s_delay_alu instid0(TRANS32_DEP_1) | instskip(SKIP_1) | instid1(SALU_CYCLE_2)
	s_mul_f32 s2, s2, 0x5f7ffffc
	s_wait_alu 0xfffe
	s_mul_f32 s21, s2, 0x2f800000
	s_wait_alu 0xfffe
	s_delay_alu instid0(SALU_CYCLE_2) | instskip(SKIP_1) | instid1(SALU_CYCLE_2)
	s_trunc_f32 s21, s21
	s_wait_alu 0xfffe
	s_fmamk_f32 s2, s21, 0xcf800000, s2
	s_cvt_u32_f32 s23, s21
	s_wait_alu 0xfffe
	s_delay_alu instid0(SALU_CYCLE_1) | instskip(SKIP_1) | instid1(SALU_CYCLE_2)
	s_cvt_u32_f32 s22, s2
	s_wait_alu 0xfffe
	s_mul_u64 s[26:27], s[24:25], s[22:23]
	s_wait_alu 0xfffe
	s_mul_hi_u32 s29, s22, s27
	s_mul_i32 s28, s22, s27
	s_mul_hi_u32 s2, s22, s26
	s_mul_i32 s30, s23, s26
	s_wait_alu 0xfffe
	s_add_nc_u64 s[28:29], s[2:3], s[28:29]
	s_mul_hi_u32 s21, s23, s26
	s_mul_hi_u32 s31, s23, s27
	s_add_co_u32 s2, s28, s30
	s_wait_alu 0xfffe
	s_add_co_ci_u32 s2, s29, s21
	s_mul_i32 s26, s23, s27
	s_add_co_ci_u32 s27, s31, 0
	s_wait_alu 0xfffe
	s_add_nc_u64 s[26:27], s[2:3], s[26:27]
	s_wait_alu 0xfffe
	v_add_co_u32 v4, s2, s22, s26
	s_delay_alu instid0(VALU_DEP_1) | instskip(SKIP_1) | instid1(VALU_DEP_1)
	s_cmp_lg_u32 s2, 0
	s_add_co_ci_u32 s23, s23, s27
	v_readfirstlane_b32 s22, v4
	s_wait_alu 0xfffe
	s_delay_alu instid0(VALU_DEP_1)
	s_mul_u64 s[24:25], s[24:25], s[22:23]
	s_wait_alu 0xfffe
	s_mul_hi_u32 s27, s22, s25
	s_mul_i32 s26, s22, s25
	s_mul_hi_u32 s2, s22, s24
	s_mul_i32 s28, s23, s24
	s_wait_alu 0xfffe
	s_add_nc_u64 s[26:27], s[2:3], s[26:27]
	s_mul_hi_u32 s21, s23, s24
	s_mul_hi_u32 s22, s23, s25
	s_wait_alu 0xfffe
	s_add_co_u32 s2, s26, s28
	s_add_co_ci_u32 s2, s27, s21
	s_mul_i32 s24, s23, s25
	s_add_co_ci_u32 s25, s22, 0
	s_wait_alu 0xfffe
	s_add_nc_u64 s[24:25], s[2:3], s[24:25]
	s_wait_alu 0xfffe
	v_add_co_u32 v4, s2, v4, s24
	s_delay_alu instid0(VALU_DEP_1) | instskip(SKIP_1) | instid1(VALU_DEP_1)
	s_cmp_lg_u32 s2, 0
	s_add_co_ci_u32 s2, s23, s25
	v_mul_hi_u32 v13, v5, v4
	s_wait_alu 0xfffe
	v_mad_co_u64_u32 v[7:8], null, v5, s2, 0
	v_mad_co_u64_u32 v[9:10], null, v6, v4, 0
	;; [unrolled: 1-line block ×3, first 2 shown]
	s_delay_alu instid0(VALU_DEP_3) | instskip(SKIP_1) | instid1(VALU_DEP_4)
	v_add_co_u32 v4, vcc_lo, v13, v7
	s_wait_alu 0xfffd
	v_add_co_ci_u32_e32 v7, vcc_lo, 0, v8, vcc_lo
	s_delay_alu instid0(VALU_DEP_2) | instskip(SKIP_1) | instid1(VALU_DEP_2)
	v_add_co_u32 v4, vcc_lo, v4, v9
	s_wait_alu 0xfffd
	v_add_co_ci_u32_e32 v4, vcc_lo, v7, v10, vcc_lo
	s_wait_alu 0xfffd
	v_add_co_ci_u32_e32 v7, vcc_lo, 0, v12, vcc_lo
	s_delay_alu instid0(VALU_DEP_2) | instskip(SKIP_1) | instid1(VALU_DEP_2)
	v_add_co_u32 v4, vcc_lo, v4, v11
	s_wait_alu 0xfffd
	v_add_co_ci_u32_e32 v9, vcc_lo, 0, v7, vcc_lo
	s_delay_alu instid0(VALU_DEP_2) | instskip(SKIP_1) | instid1(VALU_DEP_3)
	v_mul_lo_u32 v10, s19, v4
	v_mad_co_u64_u32 v[7:8], null, s18, v4, 0
	v_mul_lo_u32 v11, s18, v9
	s_delay_alu instid0(VALU_DEP_2) | instskip(NEXT) | instid1(VALU_DEP_2)
	v_sub_co_u32 v7, vcc_lo, v5, v7
	v_add3_u32 v8, v8, v11, v10
	s_delay_alu instid0(VALU_DEP_1) | instskip(SKIP_1) | instid1(VALU_DEP_1)
	v_sub_nc_u32_e32 v10, v6, v8
	s_wait_alu 0xfffd
	v_subrev_co_ci_u32_e64 v10, s2, s19, v10, vcc_lo
	v_add_co_u32 v11, s2, v4, 2
	s_wait_alu 0xf1ff
	v_add_co_ci_u32_e64 v12, s2, 0, v9, s2
	v_sub_co_u32 v13, s2, v7, s18
	v_sub_co_ci_u32_e32 v8, vcc_lo, v6, v8, vcc_lo
	s_wait_alu 0xf1ff
	v_subrev_co_ci_u32_e64 v10, s2, 0, v10, s2
	s_delay_alu instid0(VALU_DEP_3) | instskip(NEXT) | instid1(VALU_DEP_3)
	v_cmp_le_u32_e32 vcc_lo, s18, v13
	v_cmp_eq_u32_e64 s2, s19, v8
	s_wait_alu 0xfffd
	v_cndmask_b32_e64 v13, 0, -1, vcc_lo
	v_cmp_le_u32_e32 vcc_lo, s19, v10
	s_wait_alu 0xfffd
	v_cndmask_b32_e64 v14, 0, -1, vcc_lo
	v_cmp_le_u32_e32 vcc_lo, s18, v7
	;; [unrolled: 3-line block ×3, first 2 shown]
	s_wait_alu 0xfffd
	v_cndmask_b32_e64 v15, 0, -1, vcc_lo
	v_cmp_eq_u32_e32 vcc_lo, s19, v10
	s_wait_alu 0xf1ff
	s_delay_alu instid0(VALU_DEP_2)
	v_cndmask_b32_e64 v7, v15, v7, s2
	s_wait_alu 0xfffd
	v_cndmask_b32_e32 v10, v14, v13, vcc_lo
	v_add_co_u32 v13, vcc_lo, v4, 1
	s_wait_alu 0xfffd
	v_add_co_ci_u32_e32 v14, vcc_lo, 0, v9, vcc_lo
	s_delay_alu instid0(VALU_DEP_3) | instskip(SKIP_2) | instid1(VALU_DEP_3)
	v_cmp_ne_u32_e32 vcc_lo, 0, v10
	s_wait_alu 0xfffd
	v_cndmask_b32_e32 v10, v13, v11, vcc_lo
	v_cndmask_b32_e32 v8, v14, v12, vcc_lo
	v_cmp_ne_u32_e32 vcc_lo, 0, v7
	s_wait_alu 0xfffd
	s_delay_alu instid0(VALU_DEP_2)
	v_dual_cndmask_b32 v7, v4, v10 :: v_dual_cndmask_b32 v8, v9, v8
.LBB0_4:                                ;   in Loop: Header=BB0_2 Depth=1
	s_wait_alu 0xfffe
	s_and_not1_saveexec_b32 s2, s20
	s_cbranch_execz .LBB0_6
; %bb.5:                                ;   in Loop: Header=BB0_2 Depth=1
	v_cvt_f32_u32_e32 v4, s18
	s_sub_co_i32 s20, 0, s18
	s_delay_alu instid0(VALU_DEP_1) | instskip(NEXT) | instid1(TRANS32_DEP_1)
	v_rcp_iflag_f32_e32 v4, v4
	v_mul_f32_e32 v4, 0x4f7ffffe, v4
	s_delay_alu instid0(VALU_DEP_1) | instskip(SKIP_1) | instid1(VALU_DEP_1)
	v_cvt_u32_f32_e32 v4, v4
	s_wait_alu 0xfffe
	v_mul_lo_u32 v7, s20, v4
	s_delay_alu instid0(VALU_DEP_1) | instskip(NEXT) | instid1(VALU_DEP_1)
	v_mul_hi_u32 v7, v4, v7
	v_add_nc_u32_e32 v4, v4, v7
	s_delay_alu instid0(VALU_DEP_1) | instskip(NEXT) | instid1(VALU_DEP_1)
	v_mul_hi_u32 v4, v5, v4
	v_mul_lo_u32 v7, v4, s18
	v_add_nc_u32_e32 v8, 1, v4
	s_delay_alu instid0(VALU_DEP_2) | instskip(NEXT) | instid1(VALU_DEP_1)
	v_sub_nc_u32_e32 v7, v5, v7
	v_subrev_nc_u32_e32 v9, s18, v7
	v_cmp_le_u32_e32 vcc_lo, s18, v7
	s_wait_alu 0xfffd
	s_delay_alu instid0(VALU_DEP_2) | instskip(NEXT) | instid1(VALU_DEP_1)
	v_dual_cndmask_b32 v7, v7, v9 :: v_dual_cndmask_b32 v4, v4, v8
	v_cmp_le_u32_e32 vcc_lo, s18, v7
	s_delay_alu instid0(VALU_DEP_2) | instskip(SKIP_1) | instid1(VALU_DEP_1)
	v_add_nc_u32_e32 v8, 1, v4
	s_wait_alu 0xfffd
	v_dual_cndmask_b32 v7, v4, v8 :: v_dual_mov_b32 v8, v3
.LBB0_6:                                ;   in Loop: Header=BB0_2 Depth=1
	s_wait_alu 0xfffe
	s_or_b32 exec_lo, exec_lo, s2
	s_load_b64 s[20:21], s[12:13], 0x0
	s_delay_alu instid0(VALU_DEP_1)
	v_mul_lo_u32 v4, v8, s18
	v_mul_lo_u32 v11, v7, s19
	v_mad_co_u64_u32 v[9:10], null, v7, s18, 0
	s_add_nc_u64 s[14:15], s[14:15], 1
	s_add_nc_u64 s[12:13], s[12:13], 8
	s_wait_alu 0xfffe
	v_cmp_ge_u64_e64 s2, s[14:15], s[6:7]
	s_add_nc_u64 s[16:17], s[16:17], 8
	s_delay_alu instid0(VALU_DEP_2) | instskip(NEXT) | instid1(VALU_DEP_3)
	v_add3_u32 v4, v10, v11, v4
	v_sub_co_u32 v5, vcc_lo, v5, v9
	s_wait_alu 0xfffd
	s_delay_alu instid0(VALU_DEP_2) | instskip(SKIP_3) | instid1(VALU_DEP_2)
	v_sub_co_ci_u32_e32 v4, vcc_lo, v6, v4, vcc_lo
	s_and_b32 vcc_lo, exec_lo, s2
	s_wait_kmcnt 0x0
	v_mul_lo_u32 v6, s21, v5
	v_mul_lo_u32 v4, s20, v4
	v_mad_co_u64_u32 v[1:2], null, s20, v5, v[1:2]
	s_delay_alu instid0(VALU_DEP_1)
	v_add3_u32 v2, v6, v2, v4
	s_wait_alu 0xfffe
	s_cbranch_vccnz .LBB0_9
; %bb.7:                                ;   in Loop: Header=BB0_2 Depth=1
	v_dual_mov_b32 v5, v7 :: v_dual_mov_b32 v6, v8
	s_branch .LBB0_2
.LBB0_8:
	v_dual_mov_b32 v8, v6 :: v_dual_mov_b32 v7, v5
.LBB0_9:
	s_lshl_b64 s[2:3], s[6:7], 3
	v_mul_hi_u32 v5, 0x253c826, v0
	s_wait_alu 0xfffe
	s_add_nc_u64 s[2:3], s[10:11], s[2:3]
	v_mov_b32_e32 v10, 0
	s_load_b64 s[2:3], s[2:3], 0x0
	s_load_b64 s[0:1], s[0:1], 0x20
	v_mov_b32_e32 v12, 0
                                        ; implicit-def: $vgpr26
                                        ; implicit-def: $vgpr15
                                        ; implicit-def: $vgpr28
                                        ; implicit-def: $vgpr27
                                        ; implicit-def: $vgpr30
                                        ; implicit-def: $vgpr14
                                        ; implicit-def: $vgpr29
                                        ; implicit-def: $vgpr13
                                        ; implicit-def: $vgpr32
                                        ; implicit-def: $vgpr17
                                        ; implicit-def: $vgpr31
                                        ; implicit-def: $vgpr16
                                        ; implicit-def: $vgpr33
                                        ; implicit-def: $vgpr18
                                        ; implicit-def: $vgpr19
	s_wait_kmcnt 0x0
	v_mul_lo_u32 v6, s2, v8
	v_mul_lo_u32 v9, s3, v7
	v_mad_co_u64_u32 v[3:4], null, s2, v7, v[1:2]
	v_mul_u32_u24_e32 v1, 0x6e, v5
	v_cmp_gt_u64_e32 vcc_lo, s[0:1], v[7:8]
	v_mov_b32_e32 v2, 0
                                        ; implicit-def: $vgpr5
                                        ; implicit-def: $vgpr7
	s_delay_alu instid0(VALU_DEP_3) | instskip(SKIP_1) | instid1(VALU_DEP_1)
	v_sub_nc_u32_e32 v11, v0, v1
	v_add3_u32 v4, v9, v4, v6
                                        ; implicit-def: $vgpr0
                                        ; implicit-def: $vgpr1
                                        ; implicit-def: $vgpr6
	v_lshlrev_b64_e32 v[8:9], 2, v[3:4]
                                        ; implicit-def: $vgpr4
                                        ; implicit-def: $vgpr3
	s_and_saveexec_b32 s1, vcc_lo
	s_cbranch_execz .LBB0_13
; %bb.10:
	v_mov_b32_e32 v12, 0
	s_delay_alu instid0(VALU_DEP_2) | instskip(SKIP_2) | instid1(VALU_DEP_3)
	v_add_co_u32 v2, s0, s8, v8
	s_wait_alu 0xf1ff
	v_add_co_ci_u32_e64 v3, s0, s9, v9, s0
	v_lshlrev_b64_e32 v[0:1], 2, v[11:12]
	s_mov_b32 s2, exec_lo
                                        ; implicit-def: $vgpr19
	s_delay_alu instid0(VALU_DEP_1) | instskip(SKIP_1) | instid1(VALU_DEP_2)
	v_add_co_u32 v0, s0, v2, v0
	s_wait_alu 0xf1ff
	v_add_co_ci_u32_e64 v1, s0, v3, v1, s0
	v_mov_b32_e32 v2, v12
                                        ; implicit-def: $vgpr3
	s_clause 0x9
	global_load_b32 v7, v[0:1], off offset:2860
	global_load_b32 v14, v[0:1], off offset:3300
	global_load_b32 v4, v[0:1], off
	global_load_b32 v5, v[0:1], off offset:440
	global_load_b32 v6, v[0:1], off offset:880
	;; [unrolled: 1-line block ×7, first 2 shown]
	v_cmpx_gt_u32_e32 55, v11
	s_cbranch_execz .LBB0_12
; %bb.11:
	s_clause 0x1
	global_load_b32 v12, v[0:1], off offset:2200
	global_load_b32 v19, v[0:1], off offset:4620
	s_wait_loadcnt 0x1
	v_lshrrev_b32_e32 v2, 16, v12
	s_wait_loadcnt 0x0
	v_lshrrev_b32_e32 v3, 16, v19
.LBB0_12:
	s_wait_alu 0xfffe
	s_or_b32 exec_lo, exec_lo, s2
	s_wait_loadcnt 0x7
	v_lshrrev_b32_e32 v0, 16, v4
	s_wait_loadcnt 0x3
	v_lshrrev_b32_e32 v26, 16, v15
	v_lshrrev_b32_e32 v1, 16, v5
	;; [unrolled: 1-line block ×6, first 2 shown]
	s_wait_loadcnt 0x1
	v_lshrrev_b32_e32 v32, 16, v17
	v_lshrrev_b32_e32 v31, 16, v16
	s_wait_loadcnt 0x0
	v_lshrrev_b32_e32 v33, 16, v18
	v_mov_b32_e32 v10, v11
.LBB0_13:
	s_wait_alu 0xfffe
	s_or_b32 exec_lo, exec_lo, s1
	v_sub_f16_e32 v20, v4, v15
	v_sub_f16_e32 v21, v5, v7
	;; [unrolled: 1-line block ×5, first 2 shown]
	v_fma_f16 v23, v4, 2.0, -v20
	v_sub_f16_e32 v18, v16, v18
	v_fma_f16 v4, v12, 2.0, -v7
	v_add_nc_u32_e32 v15, 0x6e, v11
	v_add_nc_u32_e32 v12, 0xdc, v11
	v_pack_b32_f16 v19, v23, v20
	v_add_nc_u32_e32 v20, 0x226, v11
	v_fma_f16 v5, v5, 2.0, -v21
	v_fma_f16 v6, v6, 2.0, -v22
	;; [unrolled: 1-line block ×4, first 2 shown]
	v_lshl_add_u32 v34, v11, 2, 0
	v_lshlrev_b32_e32 v14, 1, v11
	v_lshl_add_u32 v35, v15, 2, 0
	v_lshl_add_u32 v36, v12, 2, 0
	v_cmp_gt_u32_e64 s1, 55, v11
	v_lshl_add_u32 v37, v20, 2, 0
	v_pack_b32_f16 v5, v5, v21
	v_pack_b32_f16 v6, v6, v22
	;; [unrolled: 1-line block ×4, first 2 shown]
	v_add_nc_u32_e32 v17, 0x400, v34
	ds_store_b32 v34, v19
	ds_store_b32 v35, v5
	;; [unrolled: 1-line block ×3, first 2 shown]
	ds_store_2addr_b32 v17, v13, v16 offset0:74 offset1:184
	s_and_saveexec_b32 s0, s1
	s_cbranch_execz .LBB0_15
; %bb.14:
	v_perm_b32 v5, v7, v4, 0x5040100
	ds_store_b32 v37, v5
.LBB0_15:
	s_wait_alu 0xfffe
	s_or_b32 exec_lo, exec_lo, s0
	v_sub_nc_u32_e32 v17, v34, v14
	global_wb scope:SCOPE_SE
	s_wait_dscnt 0x0
	s_barrier_signal -1
	s_barrier_wait -1
	global_inv scope:SCOPE_SE
	ds_load_u16 v5, v17
	ds_load_u16 v13, v17 offset:1672
	ds_load_u16 v19, v17 offset:1452
	;; [unrolled: 1-line block ×9, first 2 shown]
	v_sub_nc_u32_e32 v14, 0, v14
	v_add_nc_u32_e32 v38, 0x528, v34
	v_add_nc_u32_e32 v39, 0x6e0, v34
	v_cmp_gt_u32_e64 s0, 22, v11
                                        ; implicit-def: $vgpr20
                                        ; implicit-def: $vgpr23
                                        ; implicit-def: $vgpr24
	s_delay_alu instid0(VALU_DEP_4) | instskip(NEXT) | instid1(VALU_DEP_2)
	v_add_nc_u32_e32 v14, v34, v14
	s_and_saveexec_b32 s2, s0
	s_cbranch_execz .LBB0_17
; %bb.16:
	ds_load_u16 v4, v14 offset:440
	ds_load_u16 v7, v14 offset:924
	;; [unrolled: 1-line block ×5, first 2 shown]
.LBB0_17:
	s_wait_alu 0xfffe
	s_or_b32 exec_lo, exec_lo, s2
	v_sub_f16_e32 v40, v0, v26
	v_sub_f16_e32 v28, v1, v28
	v_sub_f16_e32 v30, v27, v30
	v_sub_f16_e32 v32, v29, v32
	v_sub_f16_e32 v33, v31, v33
	v_fma_f16 v41, v0, 2.0, -v40
	v_sub_f16_e32 v26, v2, v3
	v_fma_f16 v1, v1, 2.0, -v28
	v_fma_f16 v3, v27, 2.0, -v30
	;; [unrolled: 1-line block ×5, first 2 shown]
	v_pack_b32_f16 v2, v41, v40
	v_pack_b32_f16 v1, v1, v28
	;; [unrolled: 1-line block ×5, first 2 shown]
	global_wb scope:SCOPE_SE
	s_wait_dscnt 0x0
	s_barrier_signal -1
	s_barrier_wait -1
	global_inv scope:SCOPE_SE
	ds_store_b32 v34, v2
	ds_store_b32 v35, v1
	;; [unrolled: 1-line block ×5, first 2 shown]
	s_and_saveexec_b32 s2, s1
	s_cbranch_execz .LBB0_19
; %bb.18:
	v_perm_b32 v1, v26, v0, 0x5040100
	ds_store_b32 v37, v1
.LBB0_19:
	s_wait_alu 0xfffe
	s_or_b32 exec_lo, exec_lo, s2
	global_wb scope:SCOPE_SE
	s_wait_dscnt 0x0
	s_barrier_signal -1
	s_barrier_wait -1
	global_inv scope:SCOPE_SE
	ds_load_u16 v2, v14
	ds_load_u16 v27, v14 offset:1672
	ds_load_u16 v40, v14 offset:1452
	;; [unrolled: 1-line block ×9, first 2 shown]
                                        ; implicit-def: $vgpr37
                                        ; implicit-def: $vgpr38
                                        ; implicit-def: $vgpr41
	s_and_saveexec_b32 s1, s0
	s_cbranch_execz .LBB0_21
; %bb.20:
	ds_load_u16 v0, v14 offset:440
	ds_load_u16 v26, v14 offset:924
	;; [unrolled: 1-line block ×5, first 2 shown]
.LBB0_21:
	s_wait_alu 0xfffe
	s_or_b32 exec_lo, exec_lo, s1
	v_and_b32_e32 v1, 1, v11
	v_lshrrev_b32_e32 v15, 1, v15
	v_lshrrev_b32_e32 v12, 1, v12
	s_delay_alu instid0(VALU_DEP_3) | instskip(NEXT) | instid1(VALU_DEP_3)
	v_lshlrev_b32_e32 v29, 4, v1
	v_mul_u32_u24_e32 v15, 10, v15
	global_load_b128 v[51:54], v29, s[4:5]
	v_lshrrev_b32_e32 v29, 1, v11
	v_or_b32_e32 v15, v15, v1
	global_wb scope:SCOPE_SE
	s_wait_loadcnt_dscnt 0x0
	s_barrier_signal -1
	s_barrier_wait -1
	v_mul_u32_u24_e32 v29, 10, v29
	global_inv scope:SCOPE_SE
	v_or_b32_e32 v29, v29, v1
	s_delay_alu instid0(VALU_DEP_1)
	v_lshl_add_u32 v30, v29, 1, 0
	v_lshl_add_u32 v29, v15, 1, 0
	v_lshrrev_b32_e32 v33, 16, v52
	v_lshrrev_b32_e32 v34, 16, v53
	;; [unrolled: 1-line block ×4, first 2 shown]
	s_delay_alu instid0(VALU_DEP_4) | instskip(NEXT) | instid1(VALU_DEP_4)
	v_mul_f16_e32 v48, v43, v33
	v_mul_f16_e32 v49, v40, v34
	s_delay_alu instid0(VALU_DEP_4) | instskip(NEXT) | instid1(VALU_DEP_4)
	v_mul_f16_e32 v47, v46, v32
	v_mul_f16_e32 v50, v44, v55
	;; [unrolled: 1-line block ×20, first 2 shown]
	v_fmac_f16_e32 v48, v21, v52
	v_fmac_f16_e32 v49, v19, v53
	v_fmac_f16_e32 v47, v25, v51
	v_fmac_f16_e32 v50, v22, v54
	v_mul_f16_e32 v63, v17, v55
	v_mul_f16_e32 v55, v20, v55
	v_fmac_f16_e32 v42, v18, v51
	v_fmac_f16_e32 v15, v16, v52
	;; [unrolled: 1-line block ×4, first 2 shown]
	v_fma_f16 v25, v46, v51, -v56
	v_fma_f16 v22, v44, v54, -v59
	v_fmac_f16_e32 v34, v20, v54
	v_add_f16_e32 v20, v48, v49
	v_fma_f16 v21, v43, v52, -v57
	v_fma_f16 v40, v40, v53, -v58
	;; [unrolled: 1-line block ×4, first 2 shown]
	v_add_f16_e32 v38, v47, v50
	v_fma_f16 v18, v39, v51, -v60
	v_fma_f16 v16, v28, v52, -v61
	;; [unrolled: 1-line block ×3, first 2 shown]
	v_fmac_f16_e32 v31, v7, v51
	v_fma_f16 v7, v26, v51, -v64
	v_fma_f16 v13, v41, v52, -v65
	;; [unrolled: 1-line block ×3, first 2 shown]
	v_add_f16_e32 v17, v5, v47
	v_sub_f16_e32 v26, v47, v48
	v_sub_f16_e32 v37, v50, v49
	;; [unrolled: 1-line block ×4, first 2 shown]
	v_add_f16_e32 v44, v15, v36
	v_add_f16_e32 v54, v42, v45
	v_fmac_f16_e32 v33, v23, v53
	v_sub_f16_e32 v23, v25, v22
	v_fma_f16 v20, -0.5, v20, v5
	v_fmac_f16_e32 v32, v24, v52
	v_sub_f16_e32 v24, v21, v40
	v_sub_f16_e32 v52, v42, v15
	;; [unrolled: 1-line block ×3, first 2 shown]
	v_fmac_f16_e32 v5, -0.5, v38
	v_add_f16_e32 v43, v6, v42
	v_sub_f16_e32 v46, v18, v35
	v_sub_f16_e32 v51, v16, v19
	v_add_f16_e32 v17, v17, v48
	v_add_f16_e32 v26, v26, v37
	;; [unrolled: 1-line block ×3, first 2 shown]
	v_fma_f16 v39, -0.5, v44, v6
	v_fmac_f16_e32 v6, -0.5, v54
	v_fmamk_f16 v44, v23, 0xbb9c, v20
	v_add_f16_e32 v41, v52, v53
	v_fmamk_f16 v52, v24, 0x3b9c, v5
	v_fmac_f16_e32 v5, 0xbb9c, v24
	v_fmac_f16_e32 v20, 0x3b9c, v23
	v_sub_f16_e32 v55, v15, v42
	v_sub_f16_e32 v56, v36, v45
	v_add_f16_e32 v38, v43, v15
	v_add_f16_e32 v17, v17, v49
	v_fmamk_f16 v53, v46, 0xbb9c, v39
	v_fmac_f16_e32 v39, 0x3b9c, v46
	v_fmamk_f16 v54, v51, 0x3b9c, v6
	v_fmac_f16_e32 v6, 0xbb9c, v51
	v_fmac_f16_e32 v44, 0xb8b4, v24
	;; [unrolled: 1-line block ×5, first 2 shown]
	v_add_f16_e32 v43, v55, v56
	v_add_f16_e32 v38, v38, v36
	;; [unrolled: 1-line block ×3, first 2 shown]
	v_fmac_f16_e32 v53, 0xb8b4, v51
	v_fmac_f16_e32 v39, 0x38b4, v51
	;; [unrolled: 1-line block ×8, first 2 shown]
	v_add_f16_e32 v23, v38, v45
	v_fmac_f16_e32 v53, 0x34f2, v41
	v_fmac_f16_e32 v39, 0x34f2, v41
	;; [unrolled: 1-line block ×4, first 2 shown]
	ds_store_b16 v30, v17
	ds_store_b16 v30, v44 offset:4
	ds_store_b16 v30, v52 offset:8
	;; [unrolled: 1-line block ×4, first 2 shown]
	ds_store_b16 v29, v23
	ds_store_b16 v29, v53 offset:4
	ds_store_b16 v29, v54 offset:8
	;; [unrolled: 1-line block ×4, first 2 shown]
	s_and_saveexec_b32 s1, s0
	s_cbranch_execz .LBB0_23
; %bb.22:
	v_add_f16_e32 v5, v31, v34
	v_add_f16_e32 v23, v32, v33
	v_sub_f16_e32 v6, v32, v31
	v_sub_f16_e32 v17, v33, v34
	v_add_f16_e32 v37, v4, v31
	v_fma_f16 v5, -0.5, v5, v4
	v_sub_f16_e32 v24, v7, v28
	v_fma_f16 v4, -0.5, v23, v4
	v_sub_f16_e32 v20, v13, v27
	v_sub_f16_e32 v26, v31, v32
	;; [unrolled: 1-line block ×3, first 2 shown]
	v_add_f16_e32 v6, v6, v17
	v_add_f16_e32 v17, v37, v32
	v_mul_u32_u24_e32 v39, 10, v12
	v_fmamk_f16 v37, v24, 0x3b9c, v4
	v_fmac_f16_e32 v4, 0xbb9c, v24
	v_fmamk_f16 v23, v20, 0xbb9c, v5
	v_fmac_f16_e32 v5, 0x3b9c, v20
	v_add_f16_e32 v26, v26, v38
	v_add_f16_e32 v17, v17, v33
	v_or_b32_e32 v38, v39, v1
	v_fmac_f16_e32 v4, 0xb8b4, v20
	v_fmac_f16_e32 v5, 0xb8b4, v24
	;; [unrolled: 1-line block ×4, first 2 shown]
	v_add_f16_e32 v17, v17, v34
	v_lshl_add_u32 v20, v38, 1, 0
	v_fmac_f16_e32 v4, 0x34f2, v26
	v_fmac_f16_e32 v5, 0x34f2, v6
	;; [unrolled: 1-line block ×4, first 2 shown]
	ds_store_b16 v20, v17
	ds_store_b16 v20, v4 offset:4
	ds_store_b16 v20, v5 offset:8
	;; [unrolled: 1-line block ×4, first 2 shown]
.LBB0_23:
	s_wait_alu 0xfffe
	s_or_b32 exec_lo, exec_lo, s1
	v_add_f16_e32 v4, v21, v40
	v_add_f16_e32 v5, v2, v25
	v_sub_f16_e32 v6, v47, v50
	v_add_f16_e32 v24, v25, v22
	v_sub_f16_e32 v17, v48, v49
	v_fma_f16 v4, -0.5, v4, v2
	v_sub_f16_e32 v20, v25, v21
	v_sub_f16_e32 v23, v22, v40
	v_add_f16_e32 v5, v5, v21
	v_fmac_f16_e32 v2, -0.5, v24
	v_fmamk_f16 v37, v6, 0x3b9c, v4
	v_fmac_f16_e32 v4, 0xbb9c, v6
	v_add_f16_e32 v20, v20, v23
	v_add_f16_e32 v5, v5, v40
	;; [unrolled: 1-line block ×3, first 2 shown]
	v_fmac_f16_e32 v37, 0x38b4, v17
	v_fmac_f16_e32 v4, 0xb8b4, v17
	v_fmamk_f16 v38, v17, 0xbb9c, v2
	v_fmac_f16_e32 v2, 0x3b9c, v17
	v_add_f16_e32 v17, v3, v18
	v_add_f16_e32 v5, v5, v22
	v_fmac_f16_e32 v37, 0x34f2, v20
	v_fmac_f16_e32 v4, 0x34f2, v20
	v_sub_f16_e32 v20, v21, v25
	v_sub_f16_e32 v21, v40, v22
	v_fma_f16 v39, -0.5, v23, v3
	v_sub_f16_e32 v22, v42, v45
	v_fmac_f16_e32 v38, 0x38b4, v6
	v_fmac_f16_e32 v2, 0xb8b4, v6
	v_add_f16_e32 v6, v17, v16
	v_add_f16_e32 v17, v18, v35
	;; [unrolled: 1-line block ×3, first 2 shown]
	v_fmamk_f16 v40, v22, 0x3b9c, v39
	v_sub_f16_e32 v15, v15, v36
	v_fmac_f16_e32 v39, 0xbb9c, v22
	v_fmac_f16_e32 v3, -0.5, v17
	v_fmac_f16_e32 v38, 0x34f2, v20
	v_fmac_f16_e32 v2, 0x34f2, v20
	;; [unrolled: 1-line block ×3, first 2 shown]
	v_sub_f16_e32 v17, v18, v16
	v_sub_f16_e32 v20, v35, v19
	v_fmamk_f16 v36, v15, 0xbb9c, v3
	v_sub_f16_e32 v16, v16, v18
	v_sub_f16_e32 v18, v19, v35
	v_fmac_f16_e32 v3, 0x3b9c, v15
	v_fmac_f16_e32 v39, 0xb8b4, v15
	v_lshl_add_u32 v15, v11, 1, 0
	v_add_f16_e32 v6, v6, v19
	v_add_f16_e32 v41, v17, v20
	v_fmac_f16_e32 v36, 0x38b4, v22
	v_add_f16_e32 v42, v16, v18
	v_fmac_f16_e32 v3, 0xb8b4, v22
	global_wb scope:SCOPE_SE
	s_wait_dscnt 0x0
	s_barrier_signal -1
	s_barrier_wait -1
	global_inv scope:SCOPE_SE
	ds_load_u16 v24, v15 offset:440
	ds_load_u16 v23, v15 offset:660
	;; [unrolled: 1-line block ×6, first 2 shown]
	ds_load_u16 v16, v14
	ds_load_u16 v25, v15 offset:1100
	ds_load_u16 v21, v14 offset:1760
	;; [unrolled: 1-line block ×4, first 2 shown]
	v_add_f16_e32 v6, v6, v35
	v_fmac_f16_e32 v40, 0x34f2, v41
	v_fmac_f16_e32 v39, 0x34f2, v41
	;; [unrolled: 1-line block ×4, first 2 shown]
	global_wb scope:SCOPE_SE
	s_wait_dscnt 0x0
	s_barrier_signal -1
	s_barrier_wait -1
	global_inv scope:SCOPE_SE
	ds_store_b16 v30, v5
	ds_store_b16 v30, v37 offset:4
	ds_store_b16 v30, v38 offset:8
	;; [unrolled: 1-line block ×4, first 2 shown]
	ds_store_b16 v29, v6
	ds_store_b16 v29, v40 offset:4
	ds_store_b16 v29, v36 offset:8
	;; [unrolled: 1-line block ×4, first 2 shown]
	s_and_saveexec_b32 s1, s0
	s_cbranch_execz .LBB0_25
; %bb.24:
	v_add_f16_e32 v3, v13, v27
	v_add_f16_e32 v6, v7, v28
	;; [unrolled: 1-line block ×3, first 2 shown]
	v_sub_f16_e32 v4, v31, v34
	v_sub_f16_e32 v5, v32, v33
	v_fma_f16 v3, -0.5, v3, v0
	v_sub_f16_e32 v29, v7, v13
	v_sub_f16_e32 v30, v28, v27
	v_fmac_f16_e32 v0, -0.5, v6
	v_add_f16_e32 v2, v2, v13
	v_mul_u32_u24_e32 v12, 10, v12
	v_fmamk_f16 v6, v4, 0x3b9c, v3
	v_add_f16_e32 v29, v29, v30
	v_fmamk_f16 v30, v5, 0xbb9c, v0
	v_sub_f16_e32 v7, v13, v7
	v_sub_f16_e32 v13, v27, v28
	v_fmac_f16_e32 v0, 0x3b9c, v5
	v_fmac_f16_e32 v3, 0xbb9c, v4
	v_add_f16_e32 v2, v2, v27
	v_or_b32_e32 v1, v12, v1
	v_fmac_f16_e32 v6, 0x38b4, v5
	v_fmac_f16_e32 v30, 0x38b4, v4
	v_add_f16_e32 v7, v7, v13
	v_fmac_f16_e32 v0, 0xb8b4, v4
	v_fmac_f16_e32 v3, 0xb8b4, v5
	v_add_f16_e32 v2, v2, v28
	v_lshl_add_u32 v1, v1, 1, 0
	v_fmac_f16_e32 v6, 0x34f2, v29
	v_fmac_f16_e32 v30, 0x34f2, v7
	;; [unrolled: 1-line block ×4, first 2 shown]
	ds_store_b16 v1, v2
	ds_store_b16 v1, v6 offset:4
	ds_store_b16 v1, v30 offset:8
	;; [unrolled: 1-line block ×4, first 2 shown]
.LBB0_25:
	s_wait_alu 0xfffe
	s_or_b32 exec_lo, exec_lo, s1
	v_and_b32_e32 v0, 0xff, v11
	global_wb scope:SCOPE_SE
	s_wait_dscnt 0x0
	s_barrier_signal -1
	s_barrier_wait -1
	global_inv scope:SCOPE_SE
	v_mul_lo_u16 v0, 0xcd, v0
	s_delay_alu instid0(VALU_DEP_1) | instskip(NEXT) | instid1(VALU_DEP_1)
	v_lshrrev_b16 v27, 11, v0
	v_mul_lo_u16 v0, v27, 10
	v_and_b32_e32 v27, 0xffff, v27
	s_delay_alu instid0(VALU_DEP_2) | instskip(NEXT) | instid1(VALU_DEP_2)
	v_sub_nc_u16 v0, v11, v0
	v_mul_u32_u24_e32 v27, 0xdc, v27
	s_delay_alu instid0(VALU_DEP_2) | instskip(NEXT) | instid1(VALU_DEP_1)
	v_and_b32_e32 v28, 0xff, v0
	v_mul_u32_u24_e32 v0, 10, v28
	v_lshlrev_b32_e32 v33, 1, v28
	s_delay_alu instid0(VALU_DEP_2) | instskip(NEXT) | instid1(VALU_DEP_2)
	v_lshlrev_b32_e32 v12, 2, v0
	v_add3_u32 v27, 0, v27, v33
	s_clause 0x2
	global_load_b128 v[0:3], v12, s[4:5] offset:32
	global_load_b128 v[4:7], v12, s[4:5] offset:48
	global_load_b64 v[12:13], v12, s[4:5] offset:64
	ds_load_u16 v29, v15 offset:440
	ds_load_u16 v30, v15 offset:660
	;; [unrolled: 1-line block ×4, first 2 shown]
	ds_load_u16 v28, v14
	ds_load_u16 v34, v14 offset:220
	ds_load_u16 v35, v14 offset:1320
	;; [unrolled: 1-line block ×6, first 2 shown]
	global_wb scope:SCOPE_SE
	s_wait_loadcnt_dscnt 0x0
	s_barrier_signal -1
	s_barrier_wait -1
	global_inv scope:SCOPE_SE
	v_lshrrev_b32_e32 v33, 16, v0
	v_lshrrev_b32_e32 v40, 16, v1
	;; [unrolled: 1-line block ×5, first 2 shown]
	v_mul_f16_e32 v49, v34, v33
	v_mul_f16_e32 v33, v26, v33
	v_lshrrev_b32_e32 v41, 16, v2
	v_lshrrev_b32_e32 v42, 16, v3
	;; [unrolled: 1-line block ×5, first 2 shown]
	v_mul_f16_e32 v50, v29, v40
	v_mul_f16_e32 v55, v36, v45
	;; [unrolled: 1-line block ×4, first 2 shown]
	v_fmac_f16_e32 v49, v26, v0
	v_mul_f16_e32 v40, v24, v40
	v_mul_f16_e32 v57, v38, v47
	;; [unrolled: 1-line block ×3, first 2 shown]
	v_fma_f16 v0, v34, v0, -v33
	v_mul_f16_e32 v51, v30, v41
	v_mul_f16_e32 v41, v23, v41
	;; [unrolled: 1-line block ×11, first 2 shown]
	v_fmac_f16_e32 v50, v24, v1
	v_fmac_f16_e32 v55, v17, v6
	;; [unrolled: 1-line block ×3, first 2 shown]
	v_fma_f16 v13, v39, v13, -v48
	v_add_f16_e32 v17, v16, v49
	v_fma_f16 v1, v29, v1, -v40
	v_fmac_f16_e32 v57, v18, v12
	v_fma_f16 v12, v38, v12, -v47
	v_add_f16_e32 v18, v28, v0
	v_fmac_f16_e32 v51, v23, v2
	v_fma_f16 v2, v30, v2, -v41
	v_fmac_f16_e32 v52, v22, v3
	v_fma_f16 v3, v31, v3, -v42
	;; [unrolled: 2-line block ×4, first 2 shown]
	v_fma_f16 v6, v36, v6, -v45
	v_fmac_f16_e32 v56, v21, v7
	v_fma_f16 v7, v37, v7, -v46
	v_add_f16_e32 v20, v0, v13
	v_sub_f16_e32 v0, v0, v13
	v_add_f16_e32 v17, v17, v50
	v_add_f16_e32 v23, v1, v12
	v_sub_f16_e32 v25, v1, v12
	v_add_f16_e32 v1, v18, v1
	;; [unrolled: 3-line block ×3, first 2 shown]
	v_sub_f16_e32 v31, v2, v7
	v_sub_f16_e32 v33, v3, v6
	v_add_f16_e32 v34, v3, v6
	v_sub_f16_e32 v36, v4, v5
	v_add_f16_e32 v38, v4, v5
	v_mul_f16_e32 v18, 0xb853, v0
	v_mul_f16_e32 v40, 0x3abb, v20
	;; [unrolled: 1-line block ×8, first 2 shown]
	v_add_f16_e32 v17, v17, v51
	v_add_f16_e32 v1, v1, v2
	;; [unrolled: 1-line block ×3, first 2 shown]
	v_sub_f16_e32 v24, v50, v57
	v_add_f16_e32 v26, v51, v56
	v_sub_f16_e32 v30, v51, v56
	v_add_f16_e32 v32, v52, v55
	;; [unrolled: 2-line block ×3, first 2 shown]
	v_sub_f16_e32 v39, v53, v54
	v_mul_f16_e32 v46, 0xb93d, v20
	v_mul_f16_e32 v20, 0xbbad, v20
	;; [unrolled: 1-line block ×42, first 2 shown]
	v_fmamk_f16 v2, v19, 0x3abb, v18
	v_fmamk_f16 v51, v21, 0x3853, v40
	v_fma_f16 v18, v19, 0x3abb, -v18
	v_fmac_f16_e32 v40, 0xb853, v21
	v_fmamk_f16 v87, v19, 0x36a6, v41
	v_fmamk_f16 v88, v21, 0x3b47, v42
	v_fma_f16 v41, v19, 0x36a6, -v41
	v_fmac_f16_e32 v42, 0xbb47, v21
	v_fmamk_f16 v89, v19, 0xb08e, v43
	v_fmamk_f16 v90, v21, 0x3beb, v44
	v_fma_f16 v43, v19, 0xb08e, -v43
	v_fmamk_f16 v91, v19, 0xb93d, v45
	v_fma_f16 v45, v19, 0xb93d, -v45
	;; [unrolled: 2-line block ×3, first 2 shown]
	v_add_f16_e32 v17, v17, v52
	v_add_f16_e32 v1, v1, v3
	v_fmac_f16_e32 v44, 0xbbeb, v21
	v_fmamk_f16 v92, v21, 0x3a0c, v46
	v_fmac_f16_e32 v46, 0xba0c, v21
	v_fmamk_f16 v94, v21, 0x3482, v20
	;; [unrolled: 2-line block ×3, first 2 shown]
	v_fmamk_f16 v21, v24, 0x3b47, v48
	v_fma_f16 v47, v22, 0x36a6, -v47
	v_fmac_f16_e32 v48, 0xbb47, v24
	v_fmamk_f16 v95, v22, 0xb93d, v49
	v_fmamk_f16 v96, v24, 0x3a0c, v50
	v_fma_f16 v49, v22, 0xb93d, -v49
	v_fmac_f16_e32 v50, 0xba0c, v24
	v_fmamk_f16 v97, v22, 0xbbad, v59
	;; [unrolled: 4-line block ×10, first 2 shown]
	v_fma_f16 v31, v32, 0xb93d, -v71
	v_fmamk_f16 v71, v32, 0xb08e, v72
	v_fma_f16 v72, v32, 0xb08e, -v72
	v_fmamk_f16 v111, v32, 0x3abb, v73
	;; [unrolled: 2-line block ×5, first 2 shown]
	v_fmac_f16_e32 v75, 0xba0c, v35
	v_fmamk_f16 v114, v35, 0xbbeb, v76
	v_fmac_f16_e32 v76, 0x3beb, v35
	v_fmamk_f16 v115, v35, 0x3853, v77
	v_fmac_f16_e32 v77, 0xb853, v35
	v_fmamk_f16 v116, v35, 0x3482, v78
	v_fmac_f16_e32 v78, 0xb482, v35
	v_fmamk_f16 v117, v35, 0xbb47, v34
	v_fmac_f16_e32 v34, 0x3b47, v35
	v_fmamk_f16 v35, v37, 0xbbad, v79
	v_fma_f16 v79, v37, 0xbbad, -v79
	v_fmamk_f16 v118, v37, 0x3abb, v80
	v_fma_f16 v80, v37, 0x3abb, -v80
	v_fmamk_f16 v119, v37, 0xb93d, v81
	;; [unrolled: 2-line block ×5, first 2 shown]
	v_fmac_f16_e32 v83, 0xb482, v39
	v_fmamk_f16 v122, v39, 0xb853, v84
	v_fmac_f16_e32 v84, 0x3853, v39
	v_fmamk_f16 v123, v39, 0x3a0c, v85
	;; [unrolled: 2-line block ×4, first 2 shown]
	v_fmac_f16_e32 v38, 0xbbeb, v39
	v_add_f16_e32 v2, v16, v2
	v_add_f16_e32 v3, v16, v18
	;; [unrolled: 1-line block ×88, first 2 shown]
	ds_store_b16 v27, v7 offset:160
	ds_store_b16 v27, v5 offset:180
	;; [unrolled: 1-line block ×3, first 2 shown]
	v_add_f16_e32 v3, v17, v58
	v_add_f16_e32 v20, v34, v20
	;; [unrolled: 1-line block ×7, first 2 shown]
	ds_store_b16 v27, v4 offset:40
	ds_store_b16 v27, v6 offset:60
	;; [unrolled: 1-line block ×6, first 2 shown]
	v_add_f16_e32 v1, v1, v13
	ds_store_b16 v27, v2 offset:20
	ds_store_b16 v27, v3
	global_wb scope:SCOPE_SE
	s_wait_dscnt 0x0
	s_barrier_signal -1
	s_barrier_wait -1
	global_inv scope:SCOPE_SE
	ds_load_u16 v7, v15 offset:440
	ds_load_u16 v4, v15 offset:660
	;; [unrolled: 1-line block ×6, first 2 shown]
	ds_load_u16 v0, v14
	ds_load_u16 v5, v15 offset:1100
	ds_load_u16 v12, v14 offset:1760
	;; [unrolled: 1-line block ×4, first 2 shown]
	v_add_f16_e32 v44, v100, v89
	v_add_f16_e32 v46, v62, v46
	;; [unrolled: 1-line block ×13, first 2 shown]
	global_wb scope:SCOPE_SE
	s_wait_dscnt 0x0
	s_barrier_signal -1
	v_add_f16_e32 v22, v124, v26
	v_add_f16_e32 v24, v86, v29
	;; [unrolled: 1-line block ×3, first 2 shown]
	s_barrier_wait -1
	global_inv scope:SCOPE_SE
	ds_store_b16 v27, v1
	ds_store_b16 v27, v32 offset:20
	ds_store_b16 v27, v34 offset:40
	;; [unrolled: 1-line block ×10, first 2 shown]
	global_wb scope:SCOPE_SE
	s_wait_dscnt 0x0
	s_barrier_signal -1
	s_barrier_wait -1
	global_inv scope:SCOPE_SE
	s_and_saveexec_b32 s0, vcc_lo
	s_cbranch_execz .LBB0_27
; %bb.26:
	v_mul_u32_u24_e32 v1, 10, v11
	v_mov_b32_e32 v11, 0
	s_delay_alu instid0(VALU_DEP_2)
	v_lshlrev_b32_e32 v1, 2, v1
	s_clause 0x2
	global_load_b128 v[18:21], v1, s[4:5] offset:432
	global_load_b64 v[26:27], v1, s[4:5] offset:464
	global_load_b128 v[22:25], v1, s[4:5] offset:448
	ds_load_u16 v28, v14 offset:2200
	ds_load_u16 v29, v14 offset:1980
	;; [unrolled: 1-line block ×6, first 2 shown]
	ds_load_u16 v1, v14
	v_add_co_u32 v14, vcc_lo, s8, v8
	s_wait_alu 0xfffd
	v_add_co_ci_u32_e32 v34, vcc_lo, s9, v9, vcc_lo
	v_lshlrev_b64_e32 v[8:9], 2, v[10:11]
	ds_load_u16 v10, v15 offset:440
	ds_load_u16 v11, v15 offset:660
	;; [unrolled: 1-line block ×4, first 2 shown]
	v_add_co_u32 v8, vcc_lo, v14, v8
	s_wait_alu 0xfffd
	v_add_co_ci_u32_e32 v9, vcc_lo, v34, v9, vcc_lo
	s_wait_loadcnt 0x2
	v_lshrrev_b32_e32 v14, 16, v18
	s_wait_loadcnt 0x1
	v_lshrrev_b32_e32 v40, 16, v27
	v_lshrrev_b32_e32 v34, 16, v19
	;; [unrolled: 1-line block ×3, first 2 shown]
	v_mul_f16_e32 v38, v13, v18
	v_lshrrev_b32_e32 v39, 16, v26
	v_mul_f16_e32 v41, v17, v27
	s_wait_loadcnt 0x0
	v_lshrrev_b32_e32 v47, 16, v24
	v_mul_f16_e32 v17, v17, v40
	v_mul_f16_e32 v13, v13, v14
	v_lshrrev_b32_e32 v36, 16, v20
	v_mul_f16_e32 v42, v7, v19
	v_mul_f16_e32 v43, v16, v26
	v_mul_f16_e32 v44, v4, v20
	v_lshrrev_b32_e32 v48, 16, v25
	v_mul_f16_e32 v49, v12, v25
	v_mul_f16_e32 v50, v2, v21
	;; [unrolled: 1-line block ×3, first 2 shown]
	s_wait_dscnt 0x5
	v_fmac_f16_e32 v38, v33, v14
	v_mul_f16_e32 v14, v16, v39
	v_mul_f16_e32 v7, v7, v34
	v_mul_f16_e32 v6, v6, v47
	v_mul_f16_e32 v2, v2, v37
	v_fma_f16 v17, v28, v27, -v17
	v_fma_f16 v13, v33, v18, -v13
	v_lshrrev_b32_e32 v45, 16, v22
	v_fmac_f16_e32 v41, v28, v40
	s_wait_dscnt 0x3
	v_fmac_f16_e32 v42, v10, v34
	v_fmac_f16_e32 v43, v29, v39
	s_wait_dscnt 0x2
	v_fmac_f16_e32 v44, v11, v36
	v_fmac_f16_e32 v49, v30, v48
	v_mul_f16_e32 v12, v12, v48
	v_mul_f16_e32 v4, v4, v36
	s_wait_dscnt 0x1
	v_fmac_f16_e32 v50, v35, v37
	v_fma_f16 v14, v29, v26, -v14
	v_fma_f16 v7, v10, v19, -v7
	;; [unrolled: 1-line block ×4, first 2 shown]
	v_add_f16_e32 v24, v0, v38
	v_add_f16_e32 v26, v13, v17
	v_sub_f16_e32 v35, v13, v17
	v_add_f16_e32 v13, v13, v1
	v_lshrrev_b32_e32 v46, 16, v23
	v_mul_f16_e32 v52, v5, v22
	v_mul_f16_e32 v53, v3, v23
	;; [unrolled: 1-line block ×3, first 2 shown]
	v_sub_f16_e32 v16, v38, v41
	v_sub_f16_e32 v18, v42, v43
	;; [unrolled: 1-line block ×3, first 2 shown]
	v_fma_f16 v12, v30, v25, -v12
	v_fma_f16 v4, v11, v20, -v4
	v_add_f16_e32 v28, v7, v14
	v_sub_f16_e32 v36, v7, v14
	v_add_f16_e32 v24, v24, v42
	v_add_f16_e32 v7, v13, v7
	v_mul_f16_e32 v3, v3, v46
	s_wait_dscnt 0x0
	v_fmac_f16_e32 v52, v15, v45
	v_fmac_f16_e32 v53, v32, v46
	v_fma_f16 v5, v15, v22, -v5
	v_add_f16_e32 v15, v38, v41
	v_mul_f16_e32 v25, 0xb853, v16
	v_mul_f16_e32 v27, 0xbb47, v18
	;; [unrolled: 1-line block ×3, first 2 shown]
	v_add_f16_e32 v30, v4, v12
	v_sub_f16_e32 v37, v4, v12
	v_mul_f16_e32 v40, 0xbb47, v16
	v_mul_f16_e32 v46, 0x3482, v10
	;; [unrolled: 1-line block ×13, first 2 shown]
	v_add_f16_e32 v24, v24, v44
	v_add_f16_e32 v4, v7, v4
	v_fmac_f16_e32 v51, v31, v47
	v_fma_f16 v3, v32, v23, -v3
	v_add_f16_e32 v20, v42, v43
	v_add_f16_e32 v21, v44, v49
	v_add_f16_e32 v32, v2, v6
	v_sub_f16_e32 v38, v2, v6
	v_fmamk_f16 v42, v26, 0x3abb, v25
	v_fmamk_f16 v64, v28, 0x36a6, v27
	;; [unrolled: 1-line block ×11, first 2 shown]
	v_fma_f16 v16, v26, 0xbbad, -v16
	v_fma_f16 v10, v30, 0xb93d, -v10
	;; [unrolled: 1-line block ×16, first 2 shown]
	v_fmac_f16_e32 v35, 0xbbad, v15
	v_fmac_f16_e32 v98, 0xb93d, v15
	;; [unrolled: 1-line block ×5, first 2 shown]
	v_add_f16_e32 v15, v24, v50
	v_add_f16_e32 v2, v4, v2
	v_sub_f16_e32 v11, v50, v51
	v_sub_f16_e32 v19, v52, v53
	;; [unrolled: 1-line block ×3, first 2 shown]
	v_mul_f16_e32 v45, 0xba0c, v18
	v_mul_f16_e32 v55, 0x3482, v18
	;; [unrolled: 1-line block ×4, first 2 shown]
	v_add_f16_e32 v15, v15, v52
	v_add_f16_e32 v2, v2, v5
	;; [unrolled: 1-line block ×3, first 2 shown]
	v_mul_f16_e32 v31, 0xba0c, v11
	v_mul_f16_e32 v33, 0xb482, v19
	v_add_f16_e32 v34, v5, v3
	v_mul_f16_e32 v47, 0x3beb, v11
	v_mul_f16_e32 v48, 0x3853, v19
	;; [unrolled: 1-line block ×11, first 2 shown]
	v_fmamk_f16 v74, v28, 0xb93d, v45
	v_mul_f16_e32 v79, 0xba0c, v36
	v_mul_f16_e32 v80, 0x3482, v37
	v_mul_f16_e32 v82, 0x3853, v39
	v_fmamk_f16 v84, v28, 0xbbad, v55
	v_mul_f16_e32 v89, 0x3482, v36
	v_mul_f16_e32 v90, 0x3b47, v37
	;; [unrolled: 1-line block ×6, first 2 shown]
	v_fmamk_f16 v104, v28, 0x3abb, v18
	v_mul_f16_e32 v36, 0x3853, v36
	v_mul_f16_e32 v37, 0xba0c, v37
	;; [unrolled: 1-line block ×3, first 2 shown]
	v_fma_f16 v18, v28, 0x3abb, -v18
	v_fma_f16 v55, v28, 0xbbad, -v55
	;; [unrolled: 1-line block ×3, first 2 shown]
	v_add_f16_e32 v13, v1, v42
	v_add_f16_e32 v42, v1, v73
	;; [unrolled: 1-line block ×6, first 2 shown]
	v_mul_f16_e32 v71, 0xba0c, v38
	v_mul_f16_e32 v81, 0x3beb, v38
	;; [unrolled: 1-line block ×3, first 2 shown]
	v_fmamk_f16 v94, v28, 0xb08e, v60
	v_mul_f16_e32 v101, 0xb482, v38
	v_mul_f16_e32 v38, 0x3b47, v38
	v_fma_f16 v60, v28, 0xb08e, -v60
	v_add_f16_e32 v83, v1, v83
	v_add_f16_e32 v93, v1, v93
	;; [unrolled: 1-line block ×6, first 2 shown]
	v_fmamk_f16 v66, v32, 0xb93d, v31
	v_fmamk_f16 v67, v34, 0xbbad, v33
	;; [unrolled: 1-line block ×10, first 2 shown]
	v_fma_f16 v11, v32, 0x36a6, -v11
	v_fma_f16 v19, v34, 0xb08e, -v19
	;; [unrolled: 1-line block ×25, first 2 shown]
	v_fmac_f16_e32 v36, 0x3abb, v20
	v_fmac_f16_e32 v37, 0xb93d, v21
	;; [unrolled: 1-line block ×12, first 2 shown]
	v_add_f16_e32 v1, v1, v25
	v_fmac_f16_e32 v69, 0x36a6, v20
	v_fmac_f16_e32 v70, 0xb08e, v21
	;; [unrolled: 1-line block ×3, first 2 shown]
	v_add_f16_e32 v7, v13, v64
	v_add_f16_e32 v13, v0, v30
	;; [unrolled: 1-line block ×15, first 2 shown]
	v_fma_f16 v33, v22, 0xb93d, -v71
	v_fma_f16 v109, v22, 0xb08e, -v81
	;; [unrolled: 1-line block ×5, first 2 shown]
	v_fmac_f16_e32 v38, 0x36a6, v22
	v_fmac_f16_e32 v101, 0xbbad, v22
	;; [unrolled: 1-line block ×5, first 2 shown]
	v_add_f16_e32 v22, v83, v84
	v_add_f16_e32 v24, v93, v94
	v_add_f16_e32 v30, v103, v104
	v_add_f16_e32 v35, v59, v60
	v_add_f16_e32 v15, v51, v15
	v_add_f16_e32 v2, v6, v2
	v_add_f16_e32 v1, v1, v26
	v_add_f16_e32 v0, v0, v69
	v_add_f16_e32 v4, v7, v65
	v_add_f16_e32 v7, v13, v31
	v_add_f16_e32 v13, v20, v75
	v_add_f16_e32 v20, v21, v73
	v_add_f16_e32 v21, v22, v85
	v_add_f16_e32 v22, v23, v112
	v_add_f16_e32 v23, v24, v95
	v_add_f16_e32 v24, v25, v117
	v_add_f16_e32 v25, v30, v105
	v_add_f16_e32 v26, v42, v122
	v_add_f16_e32 v10, v16, v10
	v_add_f16_e32 v16, v18, v36
	v_add_f16_e32 v18, v35, v61
	v_add_f16_e32 v30, v44, v99
	v_add_f16_e32 v31, v50, v56
	v_add_f16_e32 v35, v54, v89
	v_add_f16_e32 v36, v40, v46
	v_add_f16_e32 v40, v45, v79
	v_add_f16_e32 v15, v49, v15
	v_add_f16_e32 v2, v12, v2
	v_add_f16_e32 v1, v1, v27
	v_add_f16_e32 v0, v0, v70
	v_add_f16_e32 v4, v4, v66
	v_add_f16_e32 v5, v7, v32
	v_add_f16_e32 v7, v13, v76
	v_add_f16_e32 v13, v20, v108
	v_add_f16_e32 v20, v21, v86
	v_add_f16_e32 v21, v22, v113
	v_add_f16_e32 v22, v23, v96
	v_add_f16_e32 v23, v24, v118
	v_add_f16_e32 v24, v25, v106
	v_add_f16_e32 v25, v26, v123
	v_add_f16_e32 v10, v10, v11
	v_add_f16_e32 v11, v16, v37
	v_add_f16_e32 v16, v18, v62
	v_add_f16_e32 v18, v30, v100
	v_add_f16_e32 v26, v31, v57
	v_add_f16_e32 v27, v35, v90
	v_add_f16_e32 v31, v40, v80
	v_add_f16_e32 v15, v43, v15
	v_add_f16_e32 v2, v14, v2
	v_add_f16_e32 v1, v1, v28
	v_add_f16_e32 v0, v0, v71
	v_add_f16_e32 v30, v36, v47
	v_add_f16_e32 v3, v4, v67
	v_add_f16_e32 v4, v5, v33
	v_add_f16_e32 v5, v7, v77
	v_add_f16_e32 v7, v13, v109
	v_add_f16_e32 v13, v20, v87
	v_add_f16_e32 v20, v21, v114
	v_add_f16_e32 v21, v22, v97
	v_add_f16_e32 v22, v23, v119
	v_add_f16_e32 v23, v24, v107
	v_add_f16_e32 v24, v25, v124
	v_add_f16_e32 v18, v18, v101
	v_add_f16_e32 v25, v27, v91
	v_add_f16_e32 v27, v31, v81
	v_add_f16_e32 v11, v11, v38
	v_add_f16_e32 v15, v41, v15
	v_add_f16_e32 v2, v17, v2
	v_add_f16_e32 v1, v1, v29
	v_add_f16_e32 v0, v0, v72
	v_add_f16_e32 v10, v10, v19
	v_add_f16_e32 v19, v26, v58
	v_add_f16_e32 v26, v30, v48
	v_add_f16_e32 v12, v18, v102
	v_add_f16_e32 v18, v27, v82
	v_add_f16_e32 v14, v25, v92
	v_add_f16_e32 v16, v16, v63
	v_add_f16_e32 v4, v4, v34
	v_add_f16_e32 v6, v7, v110
	v_add_f16_e32 v7, v20, v115
	v_add_f16_e32 v20, v22, v120
	v_add_f16_e32 v22, v24, v125
	v_add_f16_e32 v11, v11, v39
	v_pack_b32_f16 v2, v15, v2
	v_pack_b32_f16 v0, v0, v1
	;; [unrolled: 1-line block ×11, first 2 shown]
	s_clause 0xa
	global_store_b32 v[8:9], v2, off
	global_store_b32 v[8:9], v0, off offset:440
	global_store_b32 v[8:9], v1, off offset:880
	;; [unrolled: 1-line block ×10, first 2 shown]
.LBB0_27:
	s_nop 0
	s_sendmsg sendmsg(MSG_DEALLOC_VGPRS)
	s_endpgm
	.section	.rodata,"a",@progbits
	.p2align	6, 0x0
	.amdhsa_kernel fft_rtc_back_len1210_factors_2_5_11_11_wgs_110_tpt_110_halfLds_half_ip_CI_unitstride_sbrr_dirReg
		.amdhsa_group_segment_fixed_size 0
		.amdhsa_private_segment_fixed_size 0
		.amdhsa_kernarg_size 88
		.amdhsa_user_sgpr_count 2
		.amdhsa_user_sgpr_dispatch_ptr 0
		.amdhsa_user_sgpr_queue_ptr 0
		.amdhsa_user_sgpr_kernarg_segment_ptr 1
		.amdhsa_user_sgpr_dispatch_id 0
		.amdhsa_user_sgpr_private_segment_size 0
		.amdhsa_wavefront_size32 1
		.amdhsa_uses_dynamic_stack 0
		.amdhsa_enable_private_segment 0
		.amdhsa_system_sgpr_workgroup_id_x 1
		.amdhsa_system_sgpr_workgroup_id_y 0
		.amdhsa_system_sgpr_workgroup_id_z 0
		.amdhsa_system_sgpr_workgroup_info 0
		.amdhsa_system_vgpr_workitem_id 0
		.amdhsa_next_free_vgpr 126
		.amdhsa_next_free_sgpr 32
		.amdhsa_reserve_vcc 1
		.amdhsa_float_round_mode_32 0
		.amdhsa_float_round_mode_16_64 0
		.amdhsa_float_denorm_mode_32 3
		.amdhsa_float_denorm_mode_16_64 3
		.amdhsa_fp16_overflow 0
		.amdhsa_workgroup_processor_mode 1
		.amdhsa_memory_ordered 1
		.amdhsa_forward_progress 0
		.amdhsa_round_robin_scheduling 0
		.amdhsa_exception_fp_ieee_invalid_op 0
		.amdhsa_exception_fp_denorm_src 0
		.amdhsa_exception_fp_ieee_div_zero 0
		.amdhsa_exception_fp_ieee_overflow 0
		.amdhsa_exception_fp_ieee_underflow 0
		.amdhsa_exception_fp_ieee_inexact 0
		.amdhsa_exception_int_div_zero 0
	.end_amdhsa_kernel
	.text
.Lfunc_end0:
	.size	fft_rtc_back_len1210_factors_2_5_11_11_wgs_110_tpt_110_halfLds_half_ip_CI_unitstride_sbrr_dirReg, .Lfunc_end0-fft_rtc_back_len1210_factors_2_5_11_11_wgs_110_tpt_110_halfLds_half_ip_CI_unitstride_sbrr_dirReg
                                        ; -- End function
	.section	.AMDGPU.csdata,"",@progbits
; Kernel info:
; codeLenInByte = 9732
; NumSgprs: 34
; NumVgprs: 126
; ScratchSize: 0
; MemoryBound: 0
; FloatMode: 240
; IeeeMode: 1
; LDSByteSize: 0 bytes/workgroup (compile time only)
; SGPRBlocks: 4
; VGPRBlocks: 15
; NumSGPRsForWavesPerEU: 34
; NumVGPRsForWavesPerEU: 126
; Occupancy: 10
; WaveLimiterHint : 1
; COMPUTE_PGM_RSRC2:SCRATCH_EN: 0
; COMPUTE_PGM_RSRC2:USER_SGPR: 2
; COMPUTE_PGM_RSRC2:TRAP_HANDLER: 0
; COMPUTE_PGM_RSRC2:TGID_X_EN: 1
; COMPUTE_PGM_RSRC2:TGID_Y_EN: 0
; COMPUTE_PGM_RSRC2:TGID_Z_EN: 0
; COMPUTE_PGM_RSRC2:TIDIG_COMP_CNT: 0
	.text
	.p2alignl 7, 3214868480
	.fill 96, 4, 3214868480
	.type	__hip_cuid_53124dfd7197932b,@object ; @__hip_cuid_53124dfd7197932b
	.section	.bss,"aw",@nobits
	.globl	__hip_cuid_53124dfd7197932b
__hip_cuid_53124dfd7197932b:
	.byte	0                               ; 0x0
	.size	__hip_cuid_53124dfd7197932b, 1

	.ident	"AMD clang version 19.0.0git (https://github.com/RadeonOpenCompute/llvm-project roc-6.4.0 25133 c7fe45cf4b819c5991fe208aaa96edf142730f1d)"
	.section	".note.GNU-stack","",@progbits
	.addrsig
	.addrsig_sym __hip_cuid_53124dfd7197932b
	.amdgpu_metadata
---
amdhsa.kernels:
  - .args:
      - .actual_access:  read_only
        .address_space:  global
        .offset:         0
        .size:           8
        .value_kind:     global_buffer
      - .offset:         8
        .size:           8
        .value_kind:     by_value
      - .actual_access:  read_only
        .address_space:  global
        .offset:         16
        .size:           8
        .value_kind:     global_buffer
      - .actual_access:  read_only
        .address_space:  global
        .offset:         24
        .size:           8
        .value_kind:     global_buffer
      - .offset:         32
        .size:           8
        .value_kind:     by_value
      - .actual_access:  read_only
        .address_space:  global
        .offset:         40
        .size:           8
        .value_kind:     global_buffer
      - .actual_access:  read_only
        .address_space:  global
        .offset:         48
        .size:           8
        .value_kind:     global_buffer
      - .offset:         56
        .size:           4
        .value_kind:     by_value
      - .actual_access:  read_only
        .address_space:  global
        .offset:         64
        .size:           8
        .value_kind:     global_buffer
      - .actual_access:  read_only
        .address_space:  global
        .offset:         72
        .size:           8
        .value_kind:     global_buffer
      - .address_space:  global
        .offset:         80
        .size:           8
        .value_kind:     global_buffer
    .group_segment_fixed_size: 0
    .kernarg_segment_align: 8
    .kernarg_segment_size: 88
    .language:       OpenCL C
    .language_version:
      - 2
      - 0
    .max_flat_workgroup_size: 110
    .name:           fft_rtc_back_len1210_factors_2_5_11_11_wgs_110_tpt_110_halfLds_half_ip_CI_unitstride_sbrr_dirReg
    .private_segment_fixed_size: 0
    .sgpr_count:     34
    .sgpr_spill_count: 0
    .symbol:         fft_rtc_back_len1210_factors_2_5_11_11_wgs_110_tpt_110_halfLds_half_ip_CI_unitstride_sbrr_dirReg.kd
    .uniform_work_group_size: 1
    .uses_dynamic_stack: false
    .vgpr_count:     126
    .vgpr_spill_count: 0
    .wavefront_size: 32
    .workgroup_processor_mode: 1
amdhsa.target:   amdgcn-amd-amdhsa--gfx1201
amdhsa.version:
  - 1
  - 2
...

	.end_amdgpu_metadata
